;; amdgpu-corpus repo=ROCm/rocFFT kind=compiled arch=gfx950 opt=O3
	.text
	.amdgcn_target "amdgcn-amd-amdhsa--gfx950"
	.amdhsa_code_object_version 6
	.protected	fft_rtc_back_len343_factors_7_7_7_wgs_245_tpt_49_half_op_CI_CI_sbcc_twdbase6_3step_dirReg_intrinsicRead ; -- Begin function fft_rtc_back_len343_factors_7_7_7_wgs_245_tpt_49_half_op_CI_CI_sbcc_twdbase6_3step_dirReg_intrinsicRead
	.globl	fft_rtc_back_len343_factors_7_7_7_wgs_245_tpt_49_half_op_CI_CI_sbcc_twdbase6_3step_dirReg_intrinsicRead
	.p2align	8
	.type	fft_rtc_back_len343_factors_7_7_7_wgs_245_tpt_49_half_op_CI_CI_sbcc_twdbase6_3step_dirReg_intrinsicRead,@function
fft_rtc_back_len343_factors_7_7_7_wgs_245_tpt_49_half_op_CI_CI_sbcc_twdbase6_3step_dirReg_intrinsicRead: ; @fft_rtc_back_len343_factors_7_7_7_wgs_245_tpt_49_half_op_CI_CI_sbcc_twdbase6_3step_dirReg_intrinsicRead
; %bb.0:
	s_load_dwordx8 s[4:11], s[0:1], 0x8
	s_load_dwordx2 s[28:29], s[0:1], 0x28
	s_movk_i32 s3, 0xc0
	v_cmp_gt_u32_e32 vcc, s3, v0
	s_and_saveexec_b64 s[12:13], vcc
	s_cbranch_execz .LBB0_2
; %bb.1:
	v_lshlrev_b32_e32 v1, 2, v0
	s_waitcnt lgkmcnt(0)
	global_load_dword v2, v1, s[4:5]
	v_add_u32_e32 v1, 0, v1
	s_waitcnt vmcnt(0)
	ds_write_b32 v1, v2 offset:6860
.LBB0_2:
	s_or_b64 exec, exec, s[12:13]
	s_waitcnt lgkmcnt(0)
	s_load_dwordx2 s[30:31], s[8:9], 0x8
	s_mov_b32 s3, 0
	s_mov_b64 s[26:27], 0
	s_waitcnt lgkmcnt(0)
	s_add_u32 s4, s30, -1
	s_addc_u32 s5, s31, -1
	s_add_u32 s12, 0, 0x3330c000
	s_addc_u32 s13, 0, 0xb3
	s_mul_hi_u32 s15, s12, -5
	s_add_i32 s13, s13, 0x33333280
	s_sub_i32 s15, s15, s12
	s_mul_i32 s18, s13, -5
	s_mul_i32 s14, s12, -5
	s_add_i32 s15, s15, s18
	s_mul_hi_u32 s16, s13, s14
	s_mul_i32 s17, s13, s14
	s_mul_i32 s19, s12, s15
	s_mul_hi_u32 s14, s12, s14
	s_mul_hi_u32 s18, s12, s15
	s_add_u32 s14, s14, s19
	s_addc_u32 s18, 0, s18
	s_add_u32 s14, s14, s17
	s_mul_hi_u32 s19, s13, s15
	s_addc_u32 s14, s18, s16
	s_addc_u32 s16, s19, 0
	s_mul_i32 s15, s13, s15
	s_add_u32 s14, s14, s15
	v_mov_b32_e32 v1, s14
	s_addc_u32 s15, 0, s16
	v_add_co_u32_e32 v1, vcc, s12, v1
	s_cmp_lg_u64 vcc, 0
	s_addc_u32 s12, s13, s15
	v_readfirstlane_b32 s15, v1
	s_mul_i32 s14, s4, s12
	s_mul_hi_u32 s16, s4, s15
	s_mul_hi_u32 s13, s4, s12
	s_add_u32 s14, s16, s14
	s_addc_u32 s13, 0, s13
	s_mul_hi_u32 s17, s5, s15
	s_mul_i32 s15, s5, s15
	s_add_u32 s14, s14, s15
	s_mul_hi_u32 s16, s5, s12
	s_addc_u32 s13, s13, s17
	s_addc_u32 s14, s16, 0
	s_mul_i32 s12, s5, s12
	s_add_u32 s12, s13, s12
	s_addc_u32 s13, 0, s14
	s_add_u32 s14, s12, 1
	s_addc_u32 s15, s13, 0
	s_add_u32 s16, s12, 2
	s_mul_i32 s18, s13, 5
	s_mul_hi_u32 s19, s12, 5
	s_addc_u32 s17, s13, 0
	s_add_i32 s19, s19, s18
	s_mul_i32 s18, s12, 5
	v_mov_b32_e32 v1, s18
	v_sub_co_u32_e32 v1, vcc, s4, v1
	s_cmp_lg_u64 vcc, 0
	s_subb_u32 s4, s5, s19
	v_subrev_co_u32_e32 v2, vcc, 5, v1
	s_cmp_lg_u64 vcc, 0
	s_subb_u32 s5, s4, 0
	v_readfirstlane_b32 s18, v2
	s_cmp_gt_u32 s18, 4
	s_cselect_b32 s18, -1, 0
	s_cmp_eq_u32 s5, 0
	s_cselect_b32 s5, s18, -1
	s_cmp_lg_u32 s5, 0
	s_cselect_b32 s5, s16, s14
	s_cselect_b32 s14, s17, s15
	v_readfirstlane_b32 s15, v1
	s_cmp_gt_u32 s15, 4
	s_cselect_b32 s15, -1, 0
	s_cmp_eq_u32 s4, 0
	s_cselect_b32 s4, s15, -1
	s_cmp_lg_u32 s4, 0
	s_cselect_b32 s5, s5, s12
	s_cselect_b32 s4, s14, s13
	s_add_u32 s34, s5, 1
	s_addc_u32 s35, s4, 0
	v_mov_b64_e32 v[2:3], s[34:35]
	v_cmp_lt_u64_e32 vcc, s[2:3], v[2:3]
	s_cbranch_vccnz .LBB0_4
; %bb.3:
	v_cvt_f32_u32_e32 v1, s34
	s_sub_i32 s4, 0, s34
	s_mov_b32 s27, s3
	v_rcp_iflag_f32_e32 v1, v1
	s_nop 0
	v_mul_f32_e32 v1, 0x4f7ffffe, v1
	v_cvt_u32_f32_e32 v1, v1
	s_nop 0
	v_readfirstlane_b32 s5, v1
	s_mul_i32 s4, s4, s5
	s_mul_hi_u32 s4, s5, s4
	s_add_i32 s5, s5, s4
	s_mul_hi_u32 s4, s2, s5
	s_mul_i32 s12, s4, s34
	s_sub_i32 s12, s2, s12
	s_add_i32 s5, s4, 1
	s_sub_i32 s13, s12, s34
	s_cmp_ge_u32 s12, s34
	s_cselect_b32 s4, s5, s4
	s_cselect_b32 s12, s13, s12
	s_add_i32 s5, s4, 1
	s_cmp_ge_u32 s12, s34
	s_cselect_b32 s26, s5, s4
.LBB0_4:
	s_load_dwordx4 s[16:19], s[0:1], 0x60
	s_load_dwordx2 s[24:25], s[0:1], 0x0
	s_load_dwordx4 s[20:23], s[10:11], 0x0
	s_load_dwordx4 s[12:15], s[28:29], 0x0
	s_mul_i32 s0, s26, s35
	s_mul_hi_u32 s1, s26, s34
	s_add_i32 s1, s1, s0
	s_mul_i32 s0, s26, s34
	s_sub_u32 s0, s2, s0
	s_subb_u32 s1, 0, s1
	s_mul_i32 s1, s1, 5
	s_mul_hi_u32 s4, s0, 5
	s_add_i32 s37, s4, s1
	s_mul_i32 s36, s0, 5
	s_waitcnt lgkmcnt(0)
	s_mul_i32 s0, s22, s37
	s_mul_hi_u32 s1, s22, s36
	s_add_i32 s0, s1, s0
	s_mul_i32 s1, s23, s36
	s_add_i32 s23, s0, s1
	s_mul_i32 s0, s14, s37
	s_mul_hi_u32 s1, s14, s36
	s_add_i32 s0, s1, s0
	s_mul_i32 s1, s15, s36
	s_add_i32 s5, s0, s1
	v_cmp_lt_u64_e64 s[0:1], s[6:7], 3
	s_mul_i32 s21, s22, s36
	s_mul_i32 s4, s14, s36
	s_and_b64 vcc, exec, s[0:1]
	s_cbranch_vccnz .LBB0_14
; %bb.5:
	s_add_u32 s38, s28, 16
	s_addc_u32 s39, s29, 0
	s_add_u32 s40, s10, 16
	s_addc_u32 s41, s11, 0
	;; [unrolled: 2-line block ×3, first 2 shown]
	s_mov_b64 s[42:43], 2
	s_mov_b32 s44, 0
	v_mov_b64_e32 v[2:3], s[6:7]
.LBB0_6:                                ; =>This Inner Loop Header: Depth=1
	s_load_dwordx2 s[46:47], s[8:9], 0x0
	s_waitcnt lgkmcnt(0)
	s_or_b64 s[0:1], s[26:27], s[46:47]
	s_mov_b32 s45, s1
	s_cmp_lg_u64 s[44:45], 0
	s_cbranch_scc0 .LBB0_11
; %bb.7:                                ;   in Loop: Header=BB0_6 Depth=1
	v_cvt_f32_u32_e32 v1, s46
	v_cvt_f32_u32_e32 v4, s47
	s_sub_u32 s0, 0, s46
	s_subb_u32 s1, 0, s47
	v_fmac_f32_e32 v1, 0x4f800000, v4
	v_rcp_f32_e32 v1, v1
	s_nop 0
	v_mul_f32_e32 v1, 0x5f7ffffc, v1
	v_mul_f32_e32 v4, 0x2f800000, v1
	v_trunc_f32_e32 v4, v4
	v_fmac_f32_e32 v1, 0xcf800000, v4
	v_cvt_u32_f32_e32 v4, v4
	v_cvt_u32_f32_e32 v1, v1
	v_readfirstlane_b32 s33, v4
	v_readfirstlane_b32 s45, v1
	s_mul_i32 s48, s0, s33
	s_mul_hi_u32 s50, s0, s45
	s_mul_i32 s49, s1, s45
	s_add_i32 s48, s50, s48
	s_mul_i32 s51, s0, s45
	s_add_i32 s48, s48, s49
	s_mul_hi_u32 s49, s45, s48
	s_mul_i32 s50, s45, s48
	s_mul_hi_u32 s45, s45, s51
	s_add_u32 s45, s45, s50
	s_addc_u32 s49, 0, s49
	s_mul_hi_u32 s52, s33, s51
	s_mul_i32 s51, s33, s51
	s_add_u32 s45, s45, s51
	s_mul_hi_u32 s50, s33, s48
	s_addc_u32 s45, s49, s52
	s_addc_u32 s49, s50, 0
	s_mul_i32 s48, s33, s48
	s_add_u32 s45, s45, s48
	s_addc_u32 s48, 0, s49
	v_add_co_u32_e32 v1, vcc, s45, v1
	s_cmp_lg_u64 vcc, 0
	s_addc_u32 s33, s33, s48
	v_readfirstlane_b32 s48, v1
	s_mul_i32 s45, s0, s33
	s_mul_hi_u32 s49, s0, s48
	s_add_i32 s45, s49, s45
	s_mul_i32 s1, s1, s48
	s_add_i32 s45, s45, s1
	s_mul_i32 s0, s0, s48
	s_mul_hi_u32 s49, s33, s0
	s_mul_i32 s50, s33, s0
	s_mul_i32 s52, s48, s45
	s_mul_hi_u32 s0, s48, s0
	s_mul_hi_u32 s51, s48, s45
	s_add_u32 s0, s0, s52
	s_addc_u32 s48, 0, s51
	s_add_u32 s0, s0, s50
	s_mul_hi_u32 s1, s33, s45
	s_addc_u32 s0, s48, s49
	s_addc_u32 s1, s1, 0
	s_mul_i32 s45, s33, s45
	s_add_u32 s0, s0, s45
	s_addc_u32 s1, 0, s1
	v_add_co_u32_e32 v1, vcc, s0, v1
	s_cmp_lg_u64 vcc, 0
	s_addc_u32 s0, s33, s1
	v_readfirstlane_b32 s45, v1
	s_mul_i32 s33, s26, s0
	s_mul_hi_u32 s48, s26, s45
	s_mul_hi_u32 s1, s26, s0
	s_add_u32 s33, s48, s33
	s_addc_u32 s1, 0, s1
	s_mul_hi_u32 s49, s27, s45
	s_mul_i32 s45, s27, s45
	s_add_u32 s33, s33, s45
	s_mul_hi_u32 s48, s27, s0
	s_addc_u32 s1, s1, s49
	s_addc_u32 s33, s48, 0
	s_mul_i32 s0, s27, s0
	s_add_u32 s45, s1, s0
	s_addc_u32 s33, 0, s33
	s_mul_i32 s0, s46, s33
	s_mul_hi_u32 s1, s46, s45
	s_add_i32 s0, s1, s0
	s_mul_i32 s1, s47, s45
	s_add_i32 s48, s0, s1
	s_mul_i32 s1, s46, s45
	v_mov_b32_e32 v1, s1
	s_sub_i32 s0, s27, s48
	v_sub_co_u32_e32 v1, vcc, s26, v1
	s_cmp_lg_u64 vcc, 0
	s_subb_u32 s49, s0, s47
	v_subrev_co_u32_e64 v4, s[0:1], s46, v1
	s_cmp_lg_u64 s[0:1], 0
	s_subb_u32 s0, s49, 0
	s_cmp_ge_u32 s0, s47
	v_readfirstlane_b32 s49, v4
	s_cselect_b32 s1, -1, 0
	s_cmp_ge_u32 s49, s46
	s_cselect_b32 s49, -1, 0
	s_cmp_eq_u32 s0, s47
	s_cselect_b32 s0, s49, s1
	s_add_u32 s1, s45, 1
	s_addc_u32 s49, s33, 0
	s_add_u32 s50, s45, 2
	s_addc_u32 s51, s33, 0
	s_cmp_lg_u32 s0, 0
	s_cselect_b32 s0, s50, s1
	s_cselect_b32 s1, s51, s49
	s_cmp_lg_u64 vcc, 0
	s_subb_u32 s48, s27, s48
	s_cmp_ge_u32 s48, s47
	v_readfirstlane_b32 s50, v1
	s_cselect_b32 s49, -1, 0
	s_cmp_ge_u32 s50, s46
	s_cselect_b32 s50, -1, 0
	s_cmp_eq_u32 s48, s47
	s_cselect_b32 s48, s50, s49
	s_cmp_lg_u32 s48, 0
	s_cselect_b32 s1, s1, s33
	s_cselect_b32 s0, s0, s45
	s_cbranch_execnz .LBB0_9
.LBB0_8:                                ;   in Loop: Header=BB0_6 Depth=1
	v_cvt_f32_u32_e32 v1, s46
	s_sub_i32 s0, 0, s46
	v_rcp_iflag_f32_e32 v1, v1
	s_nop 0
	v_mul_f32_e32 v1, 0x4f7ffffe, v1
	v_cvt_u32_f32_e32 v1, v1
	s_nop 0
	v_readfirstlane_b32 s1, v1
	s_mul_i32 s0, s0, s1
	s_mul_hi_u32 s0, s1, s0
	s_add_i32 s1, s1, s0
	s_mul_hi_u32 s0, s26, s1
	s_mul_i32 s33, s0, s46
	s_sub_i32 s33, s26, s33
	s_add_i32 s1, s0, 1
	s_sub_i32 s45, s33, s46
	s_cmp_ge_u32 s33, s46
	s_cselect_b32 s0, s1, s0
	s_cselect_b32 s33, s45, s33
	s_add_i32 s1, s0, 1
	s_cmp_ge_u32 s33, s46
	s_cselect_b32 s0, s1, s0
	s_mov_b32 s1, s44
.LBB0_9:                                ;   in Loop: Header=BB0_6 Depth=1
	s_mul_i32 s33, s46, s35
	s_mul_hi_u32 s35, s46, s34
	s_add_i32 s33, s35, s33
	s_mul_i32 s35, s47, s34
	s_add_i32 s35, s33, s35
	s_mul_i32 s33, s0, s47
	s_mul_hi_u32 s45, s0, s46
	s_load_dwordx2 s[48:49], s[40:41], 0x0
	s_add_i32 s33, s45, s33
	s_mul_i32 s45, s1, s46
	s_add_i32 s33, s33, s45
	s_mul_i32 s45, s0, s46
	s_sub_u32 s45, s26, s45
	s_subb_u32 s33, s27, s33
	s_waitcnt lgkmcnt(0)
	s_mul_i32 s26, s48, s33
	s_mul_hi_u32 s27, s48, s45
	s_mul_i32 s34, s46, s34
	s_add_i32 s46, s27, s26
	s_load_dwordx2 s[26:27], s[38:39], 0x0
	s_mul_i32 s47, s49, s45
	s_add_i32 s46, s46, s47
	s_mul_i32 s47, s48, s45
	s_add_u32 s21, s47, s21
	s_addc_u32 s23, s46, s23
	s_waitcnt lgkmcnt(0)
	s_mul_i32 s33, s26, s33
	s_mul_hi_u32 s46, s26, s45
	s_add_i32 s33, s46, s33
	s_mul_i32 s27, s27, s45
	s_add_i32 s33, s33, s27
	s_mul_i32 s26, s26, s45
	s_add_u32 s4, s26, s4
	s_addc_u32 s5, s33, s5
	s_add_u32 s42, s42, 1
	s_addc_u32 s43, s43, 0
	;; [unrolled: 2-line block ×4, first 2 shown]
	s_add_u32 s8, s8, 8
	v_cmp_ge_u64_e32 vcc, s[42:43], v[2:3]
	s_addc_u32 s9, s9, 0
	s_cbranch_vccnz .LBB0_12
; %bb.10:                               ;   in Loop: Header=BB0_6 Depth=1
	s_mov_b64 s[26:27], s[0:1]
	s_branch .LBB0_6
.LBB0_11:                               ;   in Loop: Header=BB0_6 Depth=1
                                        ; implicit-def: $sgpr0_sgpr1
	s_branch .LBB0_8
.LBB0_12:
	v_mov_b64_e32 v[2:3], s[34:35]
	v_cmp_lt_u64_e32 vcc, s[2:3], v[2:3]
	s_mov_b64 s[26:27], 0
	s_cbranch_vccnz .LBB0_14
; %bb.13:
	v_cvt_f32_u32_e32 v1, s34
	s_sub_i32 s0, 0, s34
	v_rcp_iflag_f32_e32 v1, v1
	s_nop 0
	v_mul_f32_e32 v1, 0x4f7ffffe, v1
	v_cvt_u32_f32_e32 v1, v1
	s_nop 0
	v_readfirstlane_b32 s1, v1
	s_mul_i32 s0, s0, s1
	s_mul_hi_u32 s0, s1, s0
	s_add_i32 s1, s1, s0
	s_mul_hi_u32 s0, s2, s1
	s_mul_i32 s3, s0, s34
	s_sub_i32 s2, s2, s3
	s_add_i32 s1, s0, 1
	s_sub_i32 s3, s2, s34
	s_cmp_ge_u32 s2, s34
	s_cselect_b32 s0, s1, s0
	s_cselect_b32 s2, s3, s2
	s_add_i32 s1, s0, 1
	s_cmp_ge_u32 s2, s34
	s_cselect_b32 s26, s1, s0
.LBB0_14:
	s_lshl_b64 s[0:1], s[6:7], 3
	s_add_u32 s2, s10, s0
	s_addc_u32 s3, s11, s1
	s_load_dwordx2 s[2:3], s[2:3], 0x0
	s_waitcnt lgkmcnt(0)
	s_mov_b32 s3, 0x33333334
	v_mul_hi_u32 v1, v0, s3
	v_mul_u32_u24_e32 v2, 5, v1
	v_sub_u32_e32 v2, v0, v2
	s_mul_i32 s2, s2, s26
	s_add_u32 s8, s2, s21
	s_add_u32 s2, s28, s0
	s_addc_u32 s3, s29, s1
	s_add_u32 s0, s36, 5
	v_mov_b32_e32 v3, 0
	s_addc_u32 s1, s37, 0
	v_mov_b64_e32 v[6:7], s[30:31]
	v_lshl_add_u64 v[4:5], s[36:37], 0, v[2:3]
	v_cmp_le_u64_e32 vcc, s[0:1], v[6:7]
	v_mad_u64_u32 v[6:7], s[0:1], s22, v2, 0
	v_cmp_gt_u64_e64 s[0:1], s[30:31], v[4:5]
	s_or_b64 s[0:1], vcc, s[0:1]
	v_mov_b32_e32 v5, v3
	s_and_saveexec_b64 s[6:7], s[0:1]
	s_cbranch_execz .LBB0_16
; %bb.15:
	v_mul_lo_u32 v5, s20, v1
	v_add3_u32 v8, s8, v6, v5
	v_mov_b32_e32 v9, 0
	v_lshl_add_u64 v[8:9], v[8:9], 2, s[16:17]
	global_load_dword v5, v[8:9], off
.LBB0_16:
	s_or_b64 exec, exec, s[6:7]
	s_and_saveexec_b64 s[6:7], s[0:1]
	s_cbranch_execz .LBB0_18
; %bb.17:
	v_add_u32_e32 v3, 49, v1
	v_mul_lo_u32 v3, s20, v3
	v_add3_u32 v8, s8, v6, v3
	v_mov_b32_e32 v9, 0
	v_lshl_add_u64 v[8:9], v[8:9], 2, s[16:17]
	global_load_dword v3, v[8:9], off
.LBB0_18:
	s_or_b64 exec, exec, s[6:7]
	v_mov_b32_e32 v7, 0
	v_mov_b32_e32 v8, 0
	s_and_saveexec_b64 s[6:7], s[0:1]
	s_cbranch_execz .LBB0_20
; %bb.19:
	v_add_u32_e32 v8, 0x62, v1
	v_mul_lo_u32 v8, s20, v8
	v_add3_u32 v8, s8, v6, v8
	v_mov_b32_e32 v9, 0
	v_lshl_add_u64 v[8:9], v[8:9], 2, s[16:17]
	global_load_dword v8, v[8:9], off
.LBB0_20:
	s_or_b64 exec, exec, s[6:7]
	s_and_saveexec_b64 s[6:7], s[0:1]
	s_cbranch_execz .LBB0_22
; %bb.21:
	v_add_u32_e32 v7, 0x93, v1
	v_mul_lo_u32 v7, s20, v7
	v_add3_u32 v10, s8, v6, v7
	v_mov_b32_e32 v11, 0
	v_lshl_add_u64 v[10:11], v[10:11], 2, s[16:17]
	global_load_dword v7, v[10:11], off
.LBB0_22:
	s_or_b64 exec, exec, s[6:7]
	v_mov_b32_e32 v10, 0
	v_mov_b32_e32 v9, 0
	s_and_saveexec_b64 s[6:7], s[0:1]
	s_cbranch_execnz .LBB0_29
; %bb.23:
	s_or_b64 exec, exec, s[6:7]
	s_and_saveexec_b64 s[6:7], s[0:1]
	s_cbranch_execnz .LBB0_30
.LBB0_24:
	s_or_b64 exec, exec, s[6:7]
	v_mov_b32_e32 v11, 0
	s_and_saveexec_b64 s[6:7], s[0:1]
	s_cbranch_execz .LBB0_26
.LBB0_25:
	v_add_u32_e32 v11, 0x126, v1
	v_mul_lo_u32 v11, s20, v11
	v_add3_u32 v12, s8, v6, v11
	v_mov_b32_e32 v13, 0
	v_lshl_add_u64 v[12:13], v[12:13], 2, s[16:17]
	global_load_dword v11, v[12:13], off
.LBB0_26:
	s_or_b64 exec, exec, s[6:7]
	s_mov_b32 s10, 0xffff
	s_waitcnt vmcnt(0)
	v_add_f16_sdwa v6, v3, v11 dst_sel:DWORD dst_unused:UNUSED_PAD src0_sel:WORD_1 src1_sel:WORD_1
	v_bfi_b32 v12, s10, v7, v10
	v_bfi_b32 v15, s10, v3, v7
	;; [unrolled: 1-line block ×3, first 2 shown]
	v_pk_add_f16 v3, v3, v11 op_sel:[1,1] op_sel_hi:[0,0] neg_lo:[0,1] neg_hi:[0,1]
	v_bfi_b32 v11, s10, v9, v8
	v_add_f16_e32 v13, v8, v10
	v_pk_add_f16 v8, v8, v10 op_sel:[1,1] op_sel_hi:[0,0] neg_lo:[0,1] neg_hi:[0,1]
	v_pk_add_f16 v10, v11, v12
	v_pk_add_f16 v11, v15, v16
	v_pk_add_f16 v7, v9, v7 op_sel:[1,1] op_sel_hi:[0,0] neg_lo:[0,1] neg_hi:[0,1]
	v_bfi_b32 v9, s10, v13, v10
	v_pack_b32_f16 v12, v11, v6
	v_pack_b32_f16 v6, v10, v6
	v_bfi_b32 v13, s10, v13, v11
	v_pk_add_f16 v15, v9, v12
	v_pk_add_f16 v6, v6, v13 neg_lo:[0,1] neg_hi:[0,1]
	v_pk_add_f16 v13, v11, v10 neg_lo:[0,1] neg_hi:[0,1]
	v_bfi_b32 v17, s10, v7, v3
	v_bfi_b32 v18, s10, v8, v7
	;; [unrolled: 1-line block ×3, first 2 shown]
	v_pk_add_f16 v16, v7, v8
	v_pk_add_f16 v17, v17, v18 neg_lo:[0,1] neg_hi:[0,1]
	v_bfi_b32 v18, s10, v3, v7
	v_bfi_b32 v7, s10, v7, v8
	v_pk_add_f16 v10, v10, v15
	s_mov_b32 s6, 0x3a522b26
	s_mov_b32 s8, 0xb5743846
	v_pk_add_f16 v7, v18, v7 neg_lo:[0,1] neg_hi:[0,1]
	v_pk_add_f16 v5, v10, v5
	v_pk_mul_f16 v6, v6, s6
	s_mov_b32 s6, 0x2b263a52
	s_mov_b32 s7, 0x3846b574
	v_pk_mul_f16 v17, v17, s8
	s_mov_b32 s9, 0xbcab
	v_pk_add_f16 v11, v16, v3
	v_pk_mul_f16 v15, v13, s6
	v_pk_mul_f16 v16, v7, s7
	v_pk_fma_f16 v10, v10, s9, v5 op_sel_hi:[1,0,1]
	v_pk_fma_f16 v13, v13, s6, v6
	v_pk_fma_f16 v7, v7, s7, v17
	s_mov_b32 s6, 0xb70e
	v_pk_add_f16 v13, v13, v10
	v_pk_fma_f16 v7, v11, s6, v7 op_sel_hi:[1,0,1]
	v_mul_u32_u24_e32 v14, 0x8c, v1
	v_lshlrev_b32_e32 v20, 2, v2
	v_pk_add_f16 v18, v13, v7
	v_pk_add_f16 v7, v13, v7 neg_lo:[0,1] neg_hi:[0,1]
	v_add3_u32 v14, 0, v14, v20
	v_bfi_b32 v13, s10, v18, v7
	ds_write2_b32 v14, v5, v13 offset1:5
	v_pk_add_f16 v5, v9, v12 neg_lo:[0,1] neg_hi:[0,1]
	v_pk_add_f16 v3, v8, v3 neg_lo:[0,1] neg_hi:[0,1]
	v_bfi_b32 v8, s10, v15, v6
	s_movk_i32 s7, 0x39e0
	v_bfi_b32 v6, s10, v6, v15
	v_pk_fma_f16 v8, v5, s7, v8 op_sel_hi:[1,0,1] neg_lo:[1,0,1] neg_hi:[1,0,1]
	v_bfi_b32 v9, s10, v16, v17
	s_mov_b32 s8, 0xbb00
	v_pk_fma_f16 v5, v5, s7, v6 op_sel_hi:[1,0,1] neg_lo:[0,0,1] neg_hi:[0,0,1]
	v_bfi_b32 v6, s10, v17, v16
	v_pk_fma_f16 v9, v3, s8, v9 op_sel_hi:[1,0,1] neg_lo:[1,0,1] neg_hi:[1,0,1]
	v_pk_fma_f16 v3, v3, s8, v6 op_sel_hi:[1,0,1] neg_lo:[0,0,1] neg_hi:[0,0,1]
	v_pk_add_f16 v8, v8, v10
	v_pk_fma_f16 v9, v11, s6, v9 op_sel_hi:[1,0,1]
	v_pk_add_f16 v5, v5, v10
	v_pk_fma_f16 v3, v11, s6, v3 op_sel_hi:[1,0,1]
	v_pk_add_f16 v12, v8, v9
	v_pk_add_f16 v8, v8, v9 neg_lo:[0,1] neg_hi:[0,1]
	v_pk_add_f16 v6, v5, v3 neg_lo:[0,1] neg_hi:[0,1]
	v_pk_add_f16 v3, v5, v3
	v_bfi_b32 v9, s10, v12, v8
	v_bfi_b32 v5, s10, v6, v3
	ds_write2_b32 v14, v9, v5 offset0:10 offset1:15
	v_bfi_b32 v3, s10, v3, v6
	v_bfi_b32 v5, s10, v8, v12
	ds_write2_b32 v14, v3, v5 offset0:20 offset1:25
	v_bfi_b32 v3, s10, v7, v18
	s_mov_b32 s10, 0x24924925
	ds_write_b32 v14, v3 offset:120
	v_mul_hi_u32 v3, v1, s10
	v_mul_u32_u24_e32 v3, 7, v3
	v_sub_u32_e32 v7, v1, v3
	v_mul_u32_u24_e32 v3, 6, v7
	v_lshlrev_b32_e32 v3, 2, v3
	s_load_dwordx2 s[2:3], s[2:3], 0x0
	s_waitcnt lgkmcnt(0)
	s_barrier
	global_load_dwordx4 v[8:11], v3, s[24:25]
	global_load_dwordx2 v[12:13], v3, s[24:25] offset:16
	s_movk_i32 s10, 0xff88
	v_mad_i32_i24 v3, v1, s10, v14
	ds_read2_b32 v[14:15], v3 offset1:245
	v_add_u32_e32 v5, 0x780, v3
	ds_read2_b32 v[16:17], v5 offset0:10 offset1:255
	v_add_u32_e32 v6, 0xf40, v3
	ds_read2_b32 v[18:19], v6 offset0:4 offset1:249
	ds_read_b32 v21, v3 offset:5880
	s_waitcnt lgkmcnt(3)
	v_lshrrev_b32_e32 v22, 16, v15
	s_movk_i32 s16, 0x2b26
	s_mov_b32 s10, 0xb9e0
	s_mov_b32 s17, 0xb574
	s_movk_i32 s11, 0x3574
	s_mov_b32 s20, 0x7507508
	s_waitcnt lgkmcnt(0)
	s_barrier
	s_waitcnt vmcnt(1)
	v_mul_f16_sdwa v23, v8, v22 dst_sel:DWORD dst_unused:UNUSED_PAD src0_sel:WORD_1 src1_sel:DWORD
	v_fma_f16 v23, v8, v15, v23
	v_mul_f16_sdwa v15, v8, v15 dst_sel:DWORD dst_unused:UNUSED_PAD src0_sel:WORD_1 src1_sel:DWORD
	v_fma_f16 v8, v8, v22, -v15
	v_lshrrev_b32_e32 v15, 16, v16
	v_mul_f16_sdwa v22, v9, v15 dst_sel:DWORD dst_unused:UNUSED_PAD src0_sel:WORD_1 src1_sel:DWORD
	v_fma_f16 v22, v9, v16, v22
	v_mul_f16_sdwa v16, v9, v16 dst_sel:DWORD dst_unused:UNUSED_PAD src0_sel:WORD_1 src1_sel:DWORD
	v_fma_f16 v9, v9, v15, -v16
	v_lshrrev_b32_e32 v15, 16, v17
	;; [unrolled: 5-line block ×4, first 2 shown]
	s_waitcnt vmcnt(0)
	v_mul_f16_sdwa v18, v12, v15 dst_sel:DWORD dst_unused:UNUSED_PAD src0_sel:WORD_1 src1_sel:DWORD
	v_fma_f16 v18, v12, v19, v18
	v_mul_f16_sdwa v19, v12, v19 dst_sel:DWORD dst_unused:UNUSED_PAD src0_sel:WORD_1 src1_sel:DWORD
	v_fma_f16 v12, v12, v15, -v19
	v_lshrrev_b32_e32 v15, 16, v21
	v_mul_f16_sdwa v19, v13, v15 dst_sel:DWORD dst_unused:UNUSED_PAD src0_sel:WORD_1 src1_sel:DWORD
	v_fma_f16 v19, v13, v21, v19
	v_mul_f16_sdwa v21, v13, v21 dst_sel:DWORD dst_unused:UNUSED_PAD src0_sel:WORD_1 src1_sel:DWORD
	v_fma_f16 v13, v13, v15, -v21
	v_add_f16_e32 v15, v23, v19
	v_add_f16_e32 v21, v8, v13
	v_sub_f16_e32 v19, v23, v19
	v_sub_f16_e32 v8, v8, v13
	v_add_f16_e32 v13, v22, v18
	v_add_f16_e32 v23, v9, v12
	v_sub_f16_e32 v18, v22, v18
	v_sub_f16_e32 v9, v9, v12
	;; [unrolled: 4-line block ×4, first 2 shown]
	v_sub_f16_e32 v15, v15, v12
	v_sub_f16_e32 v21, v21, v22
	;; [unrolled: 1-line block ×4, first 2 shown]
	v_add_f16_e32 v26, v16, v18
	v_add_f16_e32 v27, v10, v9
	v_sub_f16_e32 v28, v16, v18
	v_sub_f16_e32 v29, v10, v9
	;; [unrolled: 1-line block ×4, first 2 shown]
	v_add_f16_e32 v11, v12, v11
	v_add_f16_e32 v12, v22, v17
	v_sub_f16_e32 v16, v19, v16
	v_sub_f16_e32 v10, v8, v10
	v_add_f16_e32 v17, v26, v19
	v_add_f16_e32 v8, v27, v8
	;; [unrolled: 1-line block ×3, first 2 shown]
	v_add_f16_sdwa v14, v12, v14 dst_sel:DWORD dst_unused:UNUSED_PAD src0_sel:DWORD src1_sel:WORD_1
	v_mul_f16_e32 v15, 0x3a52, v15
	v_mul_f16_e32 v21, 0x3a52, v21
	;; [unrolled: 1-line block ×8, first 2 shown]
	v_fma_f16 v11, v11, s9, v19
	v_fma_f16 v12, v12, s9, v14
	;; [unrolled: 1-line block ×4, first 2 shown]
	v_fma_f16 v22, v24, s7, -v22
	v_fma_f16 v26, v25, s7, -v26
	;; [unrolled: 1-line block ×4, first 2 shown]
	v_fma_f16 v24, v16, s17, v27
	v_fma_f16 v25, v10, s17, v28
	v_fma_f16 v9, v9, s8, -v28
	v_fma_f16 v16, v16, s11, -v29
	;; [unrolled: 1-line block ×4, first 2 shown]
	v_add_f16_e32 v13, v13, v11
	v_add_f16_e32 v23, v23, v12
	;; [unrolled: 1-line block ×6, first 2 shown]
	v_fma_f16 v15, v17, s6, v24
	v_fma_f16 v21, v8, s6, v25
	;; [unrolled: 1-line block ×6, first 2 shown]
	v_add_f16_e32 v10, v21, v13
	v_sub_f16_e32 v17, v23, v15
	v_add_f16_e32 v24, v8, v11
	v_sub_f16_e32 v25, v12, v16
	v_sub_f16_e32 v8, v11, v8
	v_add_f16_e32 v11, v16, v12
	v_sub_f16_e32 v12, v13, v21
	v_add_f16_e32 v13, v15, v23
	v_mul_hi_u32 v15, v0, s20
	v_mad_u32_u24 v7, v15, 49, v7
	v_sub_f16_e32 v27, v22, v9
	v_add_f16_e32 v28, v18, v26
	v_add_f16_e32 v9, v9, v22
	v_sub_f16_e32 v18, v26, v18
	v_mul_i32_i24_e32 v7, 20, v7
	v_add3_u32 v7, 0, v7, v20
	v_pack_b32_f16 v14, v19, v14
	v_pack_b32_f16 v10, v10, v17
	;; [unrolled: 1-line block ×4, first 2 shown]
	ds_write2_b32 v7, v14, v10 offset1:35
	v_pack_b32_f16 v10, v24, v25
	v_pack_b32_f16 v14, v27, v28
	ds_write2_b32 v7, v9, v8 offset0:140 offset1:175
	v_pack_b32_f16 v8, v12, v13
	ds_write2_b32 v7, v10, v14 offset0:70 offset1:105
	ds_write_b32 v7, v8 offset:840
	s_waitcnt lgkmcnt(0)
	s_barrier
	s_and_saveexec_b64 s[20:21], s[0:1]
	s_cbranch_execz .LBB0_28
; %bb.27:
	s_mov_b32 s0, 0x539782a
	v_mul_hi_u32 v7, v1, s0
	v_mul_u32_u24_e32 v7, 49, v7
	v_sub_u32_e32 v1, v1, v7
	v_mul_u32_u24_e32 v7, 6, v1
	v_lshlrev_b32_e32 v7, 2, v7
	global_load_dwordx4 v[8:11], v7, s[24:25] offset:168
	global_load_dwordx2 v[12:13], v7, s[24:25] offset:184
	ds_read2_b32 v[6:7], v6 offset0:4 offset1:249
	ds_read2_b32 v[14:15], v5 offset0:10 offset1:255
	ds_read2_b32 v[16:17], v3 offset1:245
	ds_read_b32 v3, v3 offset:5880
	s_movk_i32 s20, 0xffcf
	v_add_u32_e32 v18, 0x126, v1
	v_mul_lo_u32 v5, v4, s20
	v_mul_lo_u32 v18, v18, v4
	v_lshrrev_b32_e32 v25, 10, v18
	v_and_b32_e32 v26, 63, v18
	v_lshrrev_b32_e32 v27, 4, v18
	v_add_u32_e32 v18, v18, v5
	s_waitcnt lgkmcnt(2)
	v_lshrrev_b32_e32 v21, 16, v14
	v_lshrrev_b32_e32 v28, 10, v18
	v_and_b32_e32 v29, 63, v18
	v_lshrrev_b32_e32 v30, 4, v18
	v_add_u32_e32 v18, v18, v5
	v_lshrrev_b32_e32 v31, 10, v18
	s_mul_i32 s1, s3, s26
	s_mul_hi_u32 s3, s2, s26
	s_mul_i32 s0, s2, s26
	s_add_i32 s2, 0, 0x1acc
	v_lshrrev_b32_e32 v22, 16, v7
	v_and_b32_e32 v25, 0xfc, v25
	v_and_b32_e32 v27, 0xfc, v27
	;; [unrolled: 1-line block ×5, first 2 shown]
	s_waitcnt lgkmcnt(1)
	v_lshrrev_b32_e32 v23, 16, v17
	s_waitcnt lgkmcnt(0)
	v_lshrrev_b32_e32 v24, 16, v3
	v_lshl_add_u32 v26, v26, 2, 0
	v_add_u32_e32 v25, s2, v25
	v_add_u32_e32 v27, s2, v27
	v_lshl_add_u32 v29, v29, 2, 0
	v_add_u32_e32 v28, s2, v28
	v_add_u32_e32 v30, s2, v30
	;; [unrolled: 1-line block ×3, first 2 shown]
	v_lshrrev_b32_e32 v19, 16, v6
	v_lshrrev_b32_e32 v20, 16, v15
	v_mul_lo_u32 v4, v1, v4
	s_add_i32 s1, s3, s1
	s_lshl_b64 s[0:1], s[0:1], 2
	s_waitcnt vmcnt(1)
	v_mul_f16_sdwa v34, v9, v21 dst_sel:DWORD dst_unused:UNUSED_PAD src0_sel:WORD_1 src1_sel:DWORD
	v_mul_f16_sdwa v40, v9, v14 dst_sel:DWORD dst_unused:UNUSED_PAD src0_sel:WORD_1 src1_sel:DWORD
	v_fma_f16 v14, v9, v14, v34
	v_fma_f16 v9, v9, v21, -v40
	v_and_b32_e32 v40, 63, v18
	s_waitcnt vmcnt(0)
	v_mul_f16_sdwa v35, v12, v22 dst_sel:DWORD dst_unused:UNUSED_PAD src0_sel:WORD_1 src1_sel:DWORD
	v_mul_f16_sdwa v41, v12, v7 dst_sel:DWORD dst_unused:UNUSED_PAD src0_sel:WORD_1 src1_sel:DWORD
	v_lshl_add_u32 v40, v40, 2, 0
	v_mul_f16_sdwa v36, v8, v23 dst_sel:DWORD dst_unused:UNUSED_PAD src0_sel:WORD_1 src1_sel:DWORD
	v_mul_f16_sdwa v37, v13, v24 dst_sel:DWORD dst_unused:UNUSED_PAD src0_sel:WORD_1 src1_sel:DWORD
	;; [unrolled: 1-line block ×4, first 2 shown]
	v_fma_f16 v7, v12, v7, v35
	v_fma_f16 v12, v12, v22, -v41
	ds_read_b32 v25, v25 offset:512
	ds_read_b32 v26, v26 offset:6860
	ds_read_b32 v27, v27 offset:256
	ds_read_b32 v28, v28 offset:512
	ds_read_b32 v29, v29 offset:6860
	ds_read_b32 v30, v30 offset:256
	ds_read_b32 v31, v31 offset:512
	ds_read_b32 v40, v40 offset:6860
	s_waitcnt lgkmcnt(6)
	v_lshrrev_b32_e32 v41, 16, v26
	v_mul_f16_sdwa v32, v11, v19 dst_sel:DWORD dst_unused:UNUSED_PAD src0_sel:WORD_1 src1_sel:DWORD
	v_mul_f16_sdwa v33, v10, v20 dst_sel:DWORD dst_unused:UNUSED_PAD src0_sel:WORD_1 src1_sel:DWORD
	;; [unrolled: 1-line block ×4, first 2 shown]
	v_fma_f16 v17, v8, v17, v36
	v_fma_f16 v3, v13, v3, v37
	v_fma_f16 v8, v8, v23, -v42
	v_fma_f16 v13, v13, v24, -v43
	s_waitcnt lgkmcnt(5)
	v_mul_f16_sdwa v42, v41, v27 dst_sel:DWORD dst_unused:UNUSED_PAD src0_sel:DWORD src1_sel:WORD_1
	v_fma_f16 v6, v11, v6, v32
	v_fma_f16 v15, v10, v15, v33
	v_fma_f16 v10, v10, v20, -v38
	v_fma_f16 v11, v11, v19, -v39
	v_sub_f16_e32 v20, v14, v7
	v_sub_f16_e32 v21, v17, v3
	v_add_f16_e32 v23, v9, v12
	v_add_f16_e32 v24, v8, v13
	v_fma_f16 v42, v26, v27, -v42
	v_mul_f16_sdwa v26, v26, v27 dst_sel:DWORD dst_unused:UNUSED_PAD src0_sel:DWORD src1_sel:WORD_1
	v_add_f16_e32 v7, v14, v7
	v_add_f16_e32 v3, v17, v3
	v_sub_f16_e32 v19, v6, v15
	v_add_f16_e32 v22, v10, v11
	v_add_f16_e32 v36, v23, v24
	v_fma_f16 v26, v41, v27, v26
	v_add_f16_e32 v6, v15, v6
	v_add_f16_e32 v41, v7, v3
	v_sub_f16_e32 v10, v11, v10
	v_sub_f16_e32 v9, v9, v12
	;; [unrolled: 1-line block ×5, first 2 shown]
	v_add_f16_e32 v22, v22, v36
	v_sub_f16_e32 v14, v6, v7
	v_sub_f16_e32 v17, v3, v6
	v_add_f16_e32 v6, v6, v41
	v_sub_f16_e32 v8, v8, v13
	v_sub_f16_e32 v12, v10, v9
	v_add_f16_e32 v32, v19, v20
	v_sub_f16_e32 v19, v21, v19
	v_mul_f16_e32 v33, 0x3846, v33
	v_mul_f16_e32 v35, 0x3a52, v35
	v_add_f16_sdwa v38, v22, v16 dst_sel:DWORD dst_unused:UNUSED_PAD src0_sel:DWORD src1_sel:WORD_1
	v_mul_f16_e32 v17, 0x3a52, v17
	v_add_f16_e32 v16, v6, v16
	v_add_f16_e32 v11, v10, v9
	v_mul_f16_e32 v12, 0x3846, v12
	v_sub_f16_e32 v10, v8, v10
	v_add_f16_e32 v32, v32, v21
	v_mul_f16_e32 v37, 0x2b26, v34
	v_fma_f16 v36, v19, s17, v33
	v_fma_f16 v34, v34, s16, v35
	v_fma_f16 v22, v22, s9, v38
	v_mul_f16_sdwa v27, v26, v25 dst_sel:DWORD dst_unused:UNUSED_PAD src0_sel:DWORD src1_sel:WORD_1
	v_mul_f16_e32 v15, 0x2b26, v14
	v_fma_f16 v14, v14, s16, v17
	v_fma_f16 v6, v6, s9, v16
	v_add_f16_e32 v11, v11, v8
	v_fma_f16 v13, v10, s17, v12
	v_fma_f16 v36, v32, s6, v36
	v_add_f16_e32 v34, v34, v22
	v_fma_f16 v27, v25, v42, -v27
	v_add_f16_e32 v14, v14, v6
	v_fma_f16 v13, v11, s6, v13
	v_mul_f16_sdwa v42, v42, v25 dst_sel:DWORD dst_unused:UNUSED_PAD src0_sel:DWORD src1_sel:WORD_1
	v_add_f16_e32 v39, v36, v34
	v_sub_f16_e32 v41, v14, v13
	v_fma_f16 v25, v25, v26, v42
	v_sub_f16_e32 v20, v20, v21
	v_mul_f16_e32 v26, v41, v25
	v_mul_f16_e32 v25, v39, v25
	;; [unrolled: 1-line block ×3, first 2 shown]
	v_fma_f16 v26, v39, v27, -v26
	v_fma_f16 v25, v41, v27, v25
	v_fma_f16 v19, v19, s11, -v21
	v_sub_f16_e32 v21, v23, v24
	s_waitcnt lgkmcnt(3)
	v_lshrrev_b32_e32 v27, 16, v29
	v_sub_f16_e32 v8, v9, v8
	v_fma_f16 v23, v21, s10, -v35
	s_waitcnt lgkmcnt(2)
	v_mul_f16_sdwa v35, v27, v30 dst_sel:DWORD dst_unused:UNUSED_PAD src0_sel:DWORD src1_sel:WORD_1
	v_sub_f16_e32 v3, v7, v3
	v_mul_f16_e32 v9, 0xbb00, v8
	v_fma_f16 v35, v29, v30, -v35
	v_mul_f16_sdwa v29, v29, v30 dst_sel:DWORD dst_unused:UNUSED_PAD src0_sel:DWORD src1_sel:WORD_1
	v_fma_f16 v7, v3, s10, -v17
	v_fma_f16 v9, v10, s11, -v9
	v_fma_f16 v27, v27, v30, v29
	v_add_f16_e32 v7, v7, v6
	v_fma_f16 v9, v11, s6, v9
	v_mul_f16_sdwa v17, v35, v28 dst_sel:DWORD dst_unused:UNUSED_PAD src0_sel:DWORD src1_sel:WORD_1
	v_fma_f16 v19, v32, s6, v19
	v_add_f16_e32 v23, v23, v22
	v_mul_f16_sdwa v29, v27, v28 dst_sel:DWORD dst_unused:UNUSED_PAD src0_sel:DWORD src1_sel:WORD_1
	v_sub_f16_e32 v10, v7, v9
	v_fma_f16 v17, v28, v27, v17
	v_add_f16_e32 v24, v19, v23
	v_fma_f16 v29, v28, v35, -v29
	v_mul_f16_e32 v27, v10, v17
	v_fma_f16 v27, v24, v29, -v27
	v_mul_f16_e32 v17, v24, v17
	v_lshrrev_b32_e32 v24, 4, v18
	v_add_u32_e32 v18, v18, v5
	v_fma_f16 v10, v10, v29, v17
	v_lshrrev_b32_e32 v28, 10, v18
	v_and_b32_e32 v29, 63, v18
	v_lshrrev_b32_e32 v30, 4, v18
	v_add_u32_e32 v18, v18, v5
	v_fma_f16 v20, v20, s8, -v33
	v_add_u32_e32 v5, v18, v5
	v_fma_f16 v20, v32, s6, v20
	v_lshrrev_b32_e32 v32, 10, v18
	v_and_b32_e32 v33, 63, v18
	v_lshrrev_b32_e32 v35, 4, v18
	v_lshrrev_b32_e32 v18, 10, v5
	v_fma_f16 v17, v21, s7, -v37
	v_and_b32_e32 v24, 0xfc, v24
	v_and_b32_e32 v28, 0xfc, v28
	;; [unrolled: 1-line block ×6, first 2 shown]
	v_add_f16_e32 v17, v17, v22
	s_waitcnt lgkmcnt(0)
	v_lshrrev_b32_e32 v22, 16, v40
	v_add_u32_e32 v24, s2, v24
	v_add_u32_e32 v28, s2, v28
	v_lshl_add_u32 v29, v29, 2, 0
	v_add_u32_e32 v30, s2, v30
	v_add_u32_e32 v32, s2, v32
	v_lshl_add_u32 v33, v33, 2, 0
	v_add_u32_e32 v35, s2, v35
	v_add_u32_e32 v18, s2, v18
	ds_read_b32 v24, v24 offset:256
	ds_read_b32 v28, v28 offset:512
	;; [unrolled: 1-line block ×8, first 2 shown]
	s_waitcnt lgkmcnt(7)
	v_mul_f16_sdwa v37, v22, v24 dst_sel:DWORD dst_unused:UNUSED_PAD src0_sel:DWORD src1_sel:WORD_1
	v_fma_f16 v37, v40, v24, -v37
	v_mul_f16_sdwa v39, v40, v24 dst_sel:DWORD dst_unused:UNUSED_PAD src0_sel:DWORD src1_sel:WORD_1
	v_fma_f16 v8, v8, s8, -v12
	v_fma_f16 v3, v3, s7, -v15
	v_fma_f16 v22, v22, v24, v39
	v_fma_f16 v8, v11, s6, v8
	v_add_f16_e32 v3, v3, v6
	v_mul_f16_sdwa v11, v37, v31 dst_sel:DWORD dst_unused:UNUSED_PAD src0_sel:DWORD src1_sel:WORD_1
	v_sub_f16_e32 v21, v17, v20
	v_mul_f16_sdwa v24, v22, v31 dst_sel:DWORD dst_unused:UNUSED_PAD src0_sel:DWORD src1_sel:WORD_1
	v_add_f16_e32 v6, v8, v3
	v_fma_f16 v11, v31, v22, v11
	v_fma_f16 v24, v31, v37, -v24
	v_mul_f16_e32 v12, v6, v11
	v_mul_f16_e32 v11, v21, v11
	s_waitcnt lgkmcnt(5)
	v_lshrrev_b32_e32 v15, 16, v29
	v_fma_f16 v11, v6, v24, v11
	v_add_f16_e32 v6, v20, v17
	s_waitcnt lgkmcnt(4)
	v_mul_f16_sdwa v17, v15, v30 dst_sel:DWORD dst_unused:UNUSED_PAD src0_sel:DWORD src1_sel:WORD_1
	v_fma_f16 v17, v29, v30, -v17
	v_mul_f16_sdwa v20, v29, v30 dst_sel:DWORD dst_unused:UNUSED_PAD src0_sel:DWORD src1_sel:WORD_1
	v_fma_f16 v15, v15, v30, v20
	v_sub_f16_e32 v3, v3, v8
	v_mul_f16_sdwa v8, v17, v28 dst_sel:DWORD dst_unused:UNUSED_PAD src0_sel:DWORD src1_sel:WORD_1
	v_mul_f16_sdwa v20, v15, v28 dst_sel:DWORD dst_unused:UNUSED_PAD src0_sel:DWORD src1_sel:WORD_1
	v_fma_f16 v8, v28, v15, v8
	v_fma_f16 v20, v28, v17, -v20
	v_mul_f16_e32 v15, v3, v8
	v_fma_f16 v15, v6, v20, -v15
	v_mul_f16_e32 v6, v6, v8
	v_fma_f16 v8, v3, v20, v6
	s_waitcnt lgkmcnt(2)
	v_lshrrev_b32_e32 v6, 16, v33
	s_waitcnt lgkmcnt(1)
	v_mul_f16_sdwa v17, v6, v35 dst_sel:DWORD dst_unused:UNUSED_PAD src0_sel:DWORD src1_sel:WORD_1
	v_sub_f16_e32 v3, v23, v19
	v_fma_f16 v17, v33, v35, -v17
	v_mul_f16_sdwa v19, v33, v35 dst_sel:DWORD dst_unused:UNUSED_PAD src0_sel:DWORD src1_sel:WORD_1
	v_fma_f16 v6, v6, v35, v19
	v_add_f16_e32 v7, v9, v7
	v_mul_f16_sdwa v9, v17, v32 dst_sel:DWORD dst_unused:UNUSED_PAD src0_sel:DWORD src1_sel:WORD_1
	v_mul_f16_sdwa v19, v6, v32 dst_sel:DWORD dst_unused:UNUSED_PAD src0_sel:DWORD src1_sel:WORD_1
	v_fma_f16 v6, v32, v6, v9
	v_fma_f16 v19, v32, v17, -v19
	v_mul_f16_e32 v9, v7, v6
	v_fma_f16 v9, v3, v19, -v9
	v_mul_f16_e32 v3, v3, v6
	v_fma_f16 v7, v7, v19, v3
	v_and_b32_e32 v6, 63, v5
	v_lshrrev_b32_e32 v5, 4, v5
	v_lshrrev_b32_e32 v17, 10, v4
	v_and_b32_e32 v19, 63, v4
	v_lshrrev_b32_e32 v4, 4, v4
	v_and_b32_e32 v5, 0xfc, v5
	v_and_b32_e32 v17, 0xfc, v17
	;; [unrolled: 1-line block ×3, first 2 shown]
	v_lshl_add_u32 v6, v6, 2, 0
	v_add_u32_e32 v5, s2, v5
	v_add_u32_e32 v17, s2, v17
	v_lshl_add_u32 v19, v19, 2, 0
	v_add_u32_e32 v4, s2, v4
	ds_read_b32 v6, v6 offset:6860
	ds_read_b32 v5, v5 offset:256
	;; [unrolled: 1-line block ×5, first 2 shown]
	s_waitcnt lgkmcnt(4)
	v_lshrrev_b32_e32 v20, 16, v6
	v_fma_f16 v12, v21, v24, -v12
	s_waitcnt lgkmcnt(3)
	v_mul_f16_sdwa v21, v20, v5 dst_sel:DWORD dst_unused:UNUSED_PAD src0_sel:DWORD src1_sel:WORD_1
	v_fma_f16 v21, v6, v5, -v21
	v_mul_f16_sdwa v6, v6, v5 dst_sel:DWORD dst_unused:UNUSED_PAD src0_sel:DWORD src1_sel:WORD_1
	v_fma_f16 v5, v20, v5, v6
	v_add_f16_e32 v13, v13, v14
	v_mul_f16_sdwa v14, v21, v18 dst_sel:DWORD dst_unused:UNUSED_PAD src0_sel:DWORD src1_sel:WORD_1
	v_mul_f16_sdwa v6, v5, v18 dst_sel:DWORD dst_unused:UNUSED_PAD src0_sel:DWORD src1_sel:WORD_1
	v_fma_f16 v5, v18, v5, v14
	v_sub_f16_e32 v3, v34, v36
	v_fma_f16 v6, v18, v21, -v6
	v_mul_f16_e32 v14, v13, v5
	v_fma_f16 v14, v3, v6, -v14
	v_mul_f16_e32 v3, v3, v5
	v_fma_f16 v13, v13, v6, v3
	s_waitcnt lgkmcnt(1)
	v_lshrrev_b32_e32 v3, 16, v19
	s_waitcnt lgkmcnt(0)
	v_mul_f16_sdwa v6, v19, v4 dst_sel:DWORD dst_unused:UNUSED_PAD src0_sel:DWORD src1_sel:WORD_1
	v_mul_f16_sdwa v5, v3, v4 dst_sel:DWORD dst_unused:UNUSED_PAD src0_sel:DWORD src1_sel:WORD_1
	v_fma_f16 v3, v3, v4, v6
	v_fma_f16 v5, v19, v4, -v5
	v_mul_f16_sdwa v4, v3, v17 dst_sel:DWORD dst_unused:UNUSED_PAD src0_sel:DWORD src1_sel:WORD_1
	v_fma_f16 v4, v17, v5, -v4
	v_mul_f16_sdwa v5, v5, v17 dst_sel:DWORD dst_unused:UNUSED_PAD src0_sel:DWORD src1_sel:WORD_1
	v_fma_f16 v3, v17, v3, v5
	v_mul_f16_e32 v5, v16, v3
	v_mul_f16_e32 v3, v38, v3
	v_fma_f16 v17, v38, v4, -v5
	v_fma_f16 v16, v16, v4, v3
	v_mad_u64_u32 v[4:5], s[2:3], s14, v2, 0
	v_mov_b32_e32 v6, v5
	v_mad_u64_u32 v[2:3], s[2:3], s15, v2, v[6:7]
	s_mov_b32 s2, 0x10b7e6f
	s_nop 0
	v_mul_hi_u32 v0, v0, s2
	s_movk_i32 s2, 0x157
	v_mad_u32_u24 v6, v0, s2, v1
	v_mad_u64_u32 v[0:1], s[2:3], s12, v6, 0
	v_mov_b32_e32 v5, v2
	v_mov_b32_e32 v2, v1
	v_mad_u64_u32 v[2:3], s[2:3], s13, v6, v[2:3]
	s_add_u32 s2, s18, s0
	s_addc_u32 s3, s19, s1
	s_lshl_b64 s[0:1], s[4:5], 2
	s_add_u32 s0, s2, s0
	s_addc_u32 s1, s3, s1
	v_mov_b32_e32 v1, v2
	v_lshl_add_u64 v[2:3], v[4:5], 2, s[0:1]
	v_lshl_add_u64 v[0:1], v[0:1], 2, v[2:3]
	v_pack_b32_f16 v4, v16, v17
	v_add_u32_e32 v5, 49, v6
	global_store_dword v[0:1], v4, off
	v_mad_u64_u32 v[0:1], s[0:1], s12, v5, 0
	v_mov_b32_e32 v4, v1
	v_mad_u64_u32 v[4:5], s[0:1], s13, v5, v[4:5]
	v_mov_b32_e32 v1, v4
	v_lshl_add_u64 v[0:1], v[0:1], 2, v[2:3]
	v_pack_b32_f16 v4, v13, v14
	v_add_u32_e32 v5, 0x62, v6
	global_store_dword v[0:1], v4, off
	v_mad_u64_u32 v[0:1], s[0:1], s12, v5, 0
	v_mov_b32_e32 v4, v1
	v_mad_u64_u32 v[4:5], s[0:1], s13, v5, v[4:5]
	v_mov_b32_e32 v1, v4
	;; [unrolled: 8-line block ×6, first 2 shown]
	v_lshl_add_u64 v[0:1], v[0:1], 2, v[2:3]
	v_pack_b32_f16 v2, v25, v26
	global_store_dword v[0:1], v2, off
.LBB0_28:
	s_endpgm
.LBB0_29:
	v_add_u32_e32 v9, 0xc4, v1
	v_mul_lo_u32 v9, s20, v9
	v_add3_u32 v12, s8, v6, v9
	v_mov_b32_e32 v13, 0
	v_lshl_add_u64 v[12:13], v[12:13], 2, s[16:17]
	global_load_dword v9, v[12:13], off
	s_or_b64 exec, exec, s[6:7]
	s_and_saveexec_b64 s[6:7], s[0:1]
	s_cbranch_execz .LBB0_24
.LBB0_30:
	v_add_u32_e32 v10, 0xf5, v1
	v_mul_lo_u32 v10, s20, v10
	v_add3_u32 v10, s8, v6, v10
	v_mov_b32_e32 v11, 0
	v_lshl_add_u64 v[10:11], v[10:11], 2, s[16:17]
	global_load_dword v10, v[10:11], off
	s_or_b64 exec, exec, s[6:7]
	v_mov_b32_e32 v11, 0
	s_and_saveexec_b64 s[6:7], s[0:1]
	s_cbranch_execnz .LBB0_25
	s_branch .LBB0_26
	.section	.rodata,"a",@progbits
	.p2align	6, 0x0
	.amdhsa_kernel fft_rtc_back_len343_factors_7_7_7_wgs_245_tpt_49_half_op_CI_CI_sbcc_twdbase6_3step_dirReg_intrinsicRead
		.amdhsa_group_segment_fixed_size 0
		.amdhsa_private_segment_fixed_size 0
		.amdhsa_kernarg_size 112
		.amdhsa_user_sgpr_count 2
		.amdhsa_user_sgpr_dispatch_ptr 0
		.amdhsa_user_sgpr_queue_ptr 0
		.amdhsa_user_sgpr_kernarg_segment_ptr 1
		.amdhsa_user_sgpr_dispatch_id 0
		.amdhsa_user_sgpr_kernarg_preload_length 0
		.amdhsa_user_sgpr_kernarg_preload_offset 0
		.amdhsa_user_sgpr_private_segment_size 0
		.amdhsa_uses_dynamic_stack 0
		.amdhsa_enable_private_segment 0
		.amdhsa_system_sgpr_workgroup_id_x 1
		.amdhsa_system_sgpr_workgroup_id_y 0
		.amdhsa_system_sgpr_workgroup_id_z 0
		.amdhsa_system_sgpr_workgroup_info 0
		.amdhsa_system_vgpr_workitem_id 0
		.amdhsa_next_free_vgpr 44
		.amdhsa_next_free_sgpr 53
		.amdhsa_accum_offset 44
		.amdhsa_reserve_vcc 1
		.amdhsa_float_round_mode_32 0
		.amdhsa_float_round_mode_16_64 0
		.amdhsa_float_denorm_mode_32 3
		.amdhsa_float_denorm_mode_16_64 3
		.amdhsa_dx10_clamp 1
		.amdhsa_ieee_mode 1
		.amdhsa_fp16_overflow 0
		.amdhsa_tg_split 0
		.amdhsa_exception_fp_ieee_invalid_op 0
		.amdhsa_exception_fp_denorm_src 0
		.amdhsa_exception_fp_ieee_div_zero 0
		.amdhsa_exception_fp_ieee_overflow 0
		.amdhsa_exception_fp_ieee_underflow 0
		.amdhsa_exception_fp_ieee_inexact 0
		.amdhsa_exception_int_div_zero 0
	.end_amdhsa_kernel
	.text
.Lfunc_end0:
	.size	fft_rtc_back_len343_factors_7_7_7_wgs_245_tpt_49_half_op_CI_CI_sbcc_twdbase6_3step_dirReg_intrinsicRead, .Lfunc_end0-fft_rtc_back_len343_factors_7_7_7_wgs_245_tpt_49_half_op_CI_CI_sbcc_twdbase6_3step_dirReg_intrinsicRead
                                        ; -- End function
	.section	.AMDGPU.csdata,"",@progbits
; Kernel info:
; codeLenInByte = 6232
; NumSgprs: 59
; NumVgprs: 44
; NumAgprs: 0
; TotalNumVgprs: 44
; ScratchSize: 0
; MemoryBound: 0
; FloatMode: 240
; IeeeMode: 1
; LDSByteSize: 0 bytes/workgroup (compile time only)
; SGPRBlocks: 7
; VGPRBlocks: 5
; NumSGPRsForWavesPerEU: 59
; NumVGPRsForWavesPerEU: 44
; AccumOffset: 44
; Occupancy: 8
; WaveLimiterHint : 1
; COMPUTE_PGM_RSRC2:SCRATCH_EN: 0
; COMPUTE_PGM_RSRC2:USER_SGPR: 2
; COMPUTE_PGM_RSRC2:TRAP_HANDLER: 0
; COMPUTE_PGM_RSRC2:TGID_X_EN: 1
; COMPUTE_PGM_RSRC2:TGID_Y_EN: 0
; COMPUTE_PGM_RSRC2:TGID_Z_EN: 0
; COMPUTE_PGM_RSRC2:TIDIG_COMP_CNT: 0
; COMPUTE_PGM_RSRC3_GFX90A:ACCUM_OFFSET: 10
; COMPUTE_PGM_RSRC3_GFX90A:TG_SPLIT: 0
	.text
	.p2alignl 6, 3212836864
	.fill 256, 4, 3212836864
	.type	__hip_cuid_4950003866b958c4,@object ; @__hip_cuid_4950003866b958c4
	.section	.bss,"aw",@nobits
	.globl	__hip_cuid_4950003866b958c4
__hip_cuid_4950003866b958c4:
	.byte	0                               ; 0x0
	.size	__hip_cuid_4950003866b958c4, 1

	.ident	"AMD clang version 19.0.0git (https://github.com/RadeonOpenCompute/llvm-project roc-6.4.0 25133 c7fe45cf4b819c5991fe208aaa96edf142730f1d)"
	.section	".note.GNU-stack","",@progbits
	.addrsig
	.addrsig_sym __hip_cuid_4950003866b958c4
	.amdgpu_metadata
---
amdhsa.kernels:
  - .agpr_count:     0
    .args:
      - .actual_access:  read_only
        .address_space:  global
        .offset:         0
        .size:           8
        .value_kind:     global_buffer
      - .address_space:  global
        .offset:         8
        .size:           8
        .value_kind:     global_buffer
      - .offset:         16
        .size:           8
        .value_kind:     by_value
      - .actual_access:  read_only
        .address_space:  global
        .offset:         24
        .size:           8
        .value_kind:     global_buffer
      - .actual_access:  read_only
        .address_space:  global
        .offset:         32
        .size:           8
        .value_kind:     global_buffer
      - .actual_access:  read_only
        .address_space:  global
        .offset:         40
        .size:           8
        .value_kind:     global_buffer
      - .offset:         48
        .size:           8
        .value_kind:     by_value
      - .actual_access:  read_only
        .address_space:  global
        .offset:         56
        .size:           8
        .value_kind:     global_buffer
      - .actual_access:  read_only
        .address_space:  global
        .offset:         64
        .size:           8
        .value_kind:     global_buffer
      - .offset:         72
        .size:           4
        .value_kind:     by_value
      - .actual_access:  read_only
        .address_space:  global
        .offset:         80
        .size:           8
        .value_kind:     global_buffer
      - .actual_access:  read_only
        .address_space:  global
        .offset:         88
        .size:           8
        .value_kind:     global_buffer
      - .actual_access:  read_only
        .address_space:  global
        .offset:         96
        .size:           8
        .value_kind:     global_buffer
      - .actual_access:  write_only
        .address_space:  global
        .offset:         104
        .size:           8
        .value_kind:     global_buffer
    .group_segment_fixed_size: 0
    .kernarg_segment_align: 8
    .kernarg_segment_size: 112
    .language:       OpenCL C
    .language_version:
      - 2
      - 0
    .max_flat_workgroup_size: 245
    .name:           fft_rtc_back_len343_factors_7_7_7_wgs_245_tpt_49_half_op_CI_CI_sbcc_twdbase6_3step_dirReg_intrinsicRead
    .private_segment_fixed_size: 0
    .sgpr_count:     59
    .sgpr_spill_count: 0
    .symbol:         fft_rtc_back_len343_factors_7_7_7_wgs_245_tpt_49_half_op_CI_CI_sbcc_twdbase6_3step_dirReg_intrinsicRead.kd
    .uniform_work_group_size: 1
    .uses_dynamic_stack: false
    .vgpr_count:     44
    .vgpr_spill_count: 0
    .wavefront_size: 64
amdhsa.target:   amdgcn-amd-amdhsa--gfx950
amdhsa.version:
  - 1
  - 2
...

	.end_amdgpu_metadata
